;; amdgpu-corpus repo=ROCm/rocFFT kind=compiled arch=gfx906 opt=O3
	.text
	.amdgcn_target "amdgcn-amd-amdhsa--gfx906"
	.amdhsa_code_object_version 6
	.protected	fft_rtc_back_len1280_factors_16_5_16_wgs_80_tpt_80_halfLds_dp_ip_CI_unitstride_sbrr_dirReg ; -- Begin function fft_rtc_back_len1280_factors_16_5_16_wgs_80_tpt_80_halfLds_dp_ip_CI_unitstride_sbrr_dirReg
	.globl	fft_rtc_back_len1280_factors_16_5_16_wgs_80_tpt_80_halfLds_dp_ip_CI_unitstride_sbrr_dirReg
	.p2align	8
	.type	fft_rtc_back_len1280_factors_16_5_16_wgs_80_tpt_80_halfLds_dp_ip_CI_unitstride_sbrr_dirReg,@function
fft_rtc_back_len1280_factors_16_5_16_wgs_80_tpt_80_halfLds_dp_ip_CI_unitstride_sbrr_dirReg: ; @fft_rtc_back_len1280_factors_16_5_16_wgs_80_tpt_80_halfLds_dp_ip_CI_unitstride_sbrr_dirReg
; %bb.0:
	s_load_dwordx2 s[2:3], s[4:5], 0x50
	s_load_dwordx4 s[8:11], s[4:5], 0x0
	s_load_dwordx2 s[12:13], s[4:5], 0x18
	v_mul_u32_u24_e32 v1, 0x334, v0
	v_add_u32_sdwa v5, s6, v1 dst_sel:DWORD dst_unused:UNUSED_PAD src0_sel:DWORD src1_sel:WORD_1
	v_mov_b32_e32 v3, 0
	s_waitcnt lgkmcnt(0)
	v_cmp_lt_u64_e64 s[0:1], s[10:11], 2
	v_mov_b32_e32 v1, 0
	v_mov_b32_e32 v6, v3
	s_and_b64 vcc, exec, s[0:1]
	v_mov_b32_e32 v2, 0
	s_cbranch_vccnz .LBB0_8
; %bb.1:
	s_load_dwordx2 s[0:1], s[4:5], 0x10
	s_add_u32 s6, s12, 8
	s_addc_u32 s7, s13, 0
	v_mov_b32_e32 v1, 0
	v_mov_b32_e32 v2, 0
	s_waitcnt lgkmcnt(0)
	s_add_u32 s14, s0, 8
	s_addc_u32 s15, s1, 0
	s_mov_b64 s[16:17], 1
.LBB0_2:                                ; =>This Inner Loop Header: Depth=1
	s_load_dwordx2 s[18:19], s[14:15], 0x0
                                        ; implicit-def: $vgpr7_vgpr8
	s_waitcnt lgkmcnt(0)
	v_or_b32_e32 v4, s19, v6
	v_cmp_ne_u64_e32 vcc, 0, v[3:4]
	s_and_saveexec_b64 s[0:1], vcc
	s_xor_b64 s[20:21], exec, s[0:1]
	s_cbranch_execz .LBB0_4
; %bb.3:                                ;   in Loop: Header=BB0_2 Depth=1
	v_cvt_f32_u32_e32 v4, s18
	v_cvt_f32_u32_e32 v7, s19
	s_sub_u32 s0, 0, s18
	s_subb_u32 s1, 0, s19
	v_mac_f32_e32 v4, 0x4f800000, v7
	v_rcp_f32_e32 v4, v4
	v_mul_f32_e32 v4, 0x5f7ffffc, v4
	v_mul_f32_e32 v7, 0x2f800000, v4
	v_trunc_f32_e32 v7, v7
	v_mac_f32_e32 v4, 0xcf800000, v7
	v_cvt_u32_f32_e32 v7, v7
	v_cvt_u32_f32_e32 v4, v4
	v_mul_lo_u32 v8, s0, v7
	v_mul_hi_u32 v9, s0, v4
	v_mul_lo_u32 v11, s1, v4
	v_mul_lo_u32 v10, s0, v4
	v_add_u32_e32 v8, v9, v8
	v_add_u32_e32 v8, v8, v11
	v_mul_hi_u32 v9, v4, v10
	v_mul_lo_u32 v11, v4, v8
	v_mul_hi_u32 v13, v4, v8
	v_mul_hi_u32 v12, v7, v10
	v_mul_lo_u32 v10, v7, v10
	v_mul_hi_u32 v14, v7, v8
	v_add_co_u32_e32 v9, vcc, v9, v11
	v_addc_co_u32_e32 v11, vcc, 0, v13, vcc
	v_mul_lo_u32 v8, v7, v8
	v_add_co_u32_e32 v9, vcc, v9, v10
	v_addc_co_u32_e32 v9, vcc, v11, v12, vcc
	v_addc_co_u32_e32 v10, vcc, 0, v14, vcc
	v_add_co_u32_e32 v8, vcc, v9, v8
	v_addc_co_u32_e32 v9, vcc, 0, v10, vcc
	v_add_co_u32_e32 v4, vcc, v4, v8
	v_addc_co_u32_e32 v7, vcc, v7, v9, vcc
	v_mul_lo_u32 v8, s0, v7
	v_mul_hi_u32 v9, s0, v4
	v_mul_lo_u32 v10, s1, v4
	v_mul_lo_u32 v11, s0, v4
	v_add_u32_e32 v8, v9, v8
	v_add_u32_e32 v8, v8, v10
	v_mul_lo_u32 v12, v4, v8
	v_mul_hi_u32 v13, v4, v11
	v_mul_hi_u32 v14, v4, v8
	;; [unrolled: 1-line block ×3, first 2 shown]
	v_mul_lo_u32 v11, v7, v11
	v_mul_hi_u32 v9, v7, v8
	v_add_co_u32_e32 v12, vcc, v13, v12
	v_addc_co_u32_e32 v13, vcc, 0, v14, vcc
	v_mul_lo_u32 v8, v7, v8
	v_add_co_u32_e32 v11, vcc, v12, v11
	v_addc_co_u32_e32 v10, vcc, v13, v10, vcc
	v_addc_co_u32_e32 v9, vcc, 0, v9, vcc
	v_add_co_u32_e32 v8, vcc, v10, v8
	v_addc_co_u32_e32 v9, vcc, 0, v9, vcc
	v_add_co_u32_e32 v4, vcc, v4, v8
	v_addc_co_u32_e32 v9, vcc, v7, v9, vcc
	v_mad_u64_u32 v[7:8], s[0:1], v5, v9, 0
	v_mul_hi_u32 v10, v5, v4
	v_add_co_u32_e32 v11, vcc, v10, v7
	v_addc_co_u32_e32 v12, vcc, 0, v8, vcc
	v_mad_u64_u32 v[7:8], s[0:1], v6, v4, 0
	v_mad_u64_u32 v[9:10], s[0:1], v6, v9, 0
	v_add_co_u32_e32 v4, vcc, v11, v7
	v_addc_co_u32_e32 v4, vcc, v12, v8, vcc
	v_addc_co_u32_e32 v7, vcc, 0, v10, vcc
	v_add_co_u32_e32 v4, vcc, v4, v9
	v_addc_co_u32_e32 v9, vcc, 0, v7, vcc
	v_mul_lo_u32 v10, s19, v4
	v_mul_lo_u32 v11, s18, v9
	v_mad_u64_u32 v[7:8], s[0:1], s18, v4, 0
	v_add3_u32 v8, v8, v11, v10
	v_sub_u32_e32 v10, v6, v8
	v_mov_b32_e32 v11, s19
	v_sub_co_u32_e32 v7, vcc, v5, v7
	v_subb_co_u32_e64 v10, s[0:1], v10, v11, vcc
	v_subrev_co_u32_e64 v11, s[0:1], s18, v7
	v_subbrev_co_u32_e64 v10, s[0:1], 0, v10, s[0:1]
	v_cmp_le_u32_e64 s[0:1], s19, v10
	v_cndmask_b32_e64 v12, 0, -1, s[0:1]
	v_cmp_le_u32_e64 s[0:1], s18, v11
	v_cndmask_b32_e64 v11, 0, -1, s[0:1]
	v_cmp_eq_u32_e64 s[0:1], s19, v10
	v_cndmask_b32_e64 v10, v12, v11, s[0:1]
	v_add_co_u32_e64 v11, s[0:1], 2, v4
	v_addc_co_u32_e64 v12, s[0:1], 0, v9, s[0:1]
	v_add_co_u32_e64 v13, s[0:1], 1, v4
	v_addc_co_u32_e64 v14, s[0:1], 0, v9, s[0:1]
	v_subb_co_u32_e32 v8, vcc, v6, v8, vcc
	v_cmp_ne_u32_e64 s[0:1], 0, v10
	v_cmp_le_u32_e32 vcc, s19, v8
	v_cndmask_b32_e64 v10, v14, v12, s[0:1]
	v_cndmask_b32_e64 v12, 0, -1, vcc
	v_cmp_le_u32_e32 vcc, s18, v7
	v_cndmask_b32_e64 v7, 0, -1, vcc
	v_cmp_eq_u32_e32 vcc, s19, v8
	v_cndmask_b32_e32 v7, v12, v7, vcc
	v_cmp_ne_u32_e32 vcc, 0, v7
	v_cndmask_b32_e64 v7, v13, v11, s[0:1]
	v_cndmask_b32_e32 v8, v9, v10, vcc
	v_cndmask_b32_e32 v7, v4, v7, vcc
.LBB0_4:                                ;   in Loop: Header=BB0_2 Depth=1
	s_andn2_saveexec_b64 s[0:1], s[20:21]
	s_cbranch_execz .LBB0_6
; %bb.5:                                ;   in Loop: Header=BB0_2 Depth=1
	v_cvt_f32_u32_e32 v4, s18
	s_sub_i32 s20, 0, s18
	v_rcp_iflag_f32_e32 v4, v4
	v_mul_f32_e32 v4, 0x4f7ffffe, v4
	v_cvt_u32_f32_e32 v4, v4
	v_mul_lo_u32 v7, s20, v4
	v_mul_hi_u32 v7, v4, v7
	v_add_u32_e32 v4, v4, v7
	v_mul_hi_u32 v4, v5, v4
	v_mul_lo_u32 v7, v4, s18
	v_add_u32_e32 v8, 1, v4
	v_sub_u32_e32 v7, v5, v7
	v_subrev_u32_e32 v9, s18, v7
	v_cmp_le_u32_e32 vcc, s18, v7
	v_cndmask_b32_e32 v7, v7, v9, vcc
	v_cndmask_b32_e32 v4, v4, v8, vcc
	v_add_u32_e32 v8, 1, v4
	v_cmp_le_u32_e32 vcc, s18, v7
	v_cndmask_b32_e32 v7, v4, v8, vcc
	v_mov_b32_e32 v8, v3
.LBB0_6:                                ;   in Loop: Header=BB0_2 Depth=1
	s_or_b64 exec, exec, s[0:1]
	v_mul_lo_u32 v4, v8, s18
	v_mul_lo_u32 v11, v7, s19
	v_mad_u64_u32 v[9:10], s[0:1], v7, s18, 0
	s_load_dwordx2 s[0:1], s[6:7], 0x0
	s_add_u32 s16, s16, 1
	v_add3_u32 v4, v10, v11, v4
	v_sub_co_u32_e32 v5, vcc, v5, v9
	v_subb_co_u32_e32 v4, vcc, v6, v4, vcc
	s_waitcnt lgkmcnt(0)
	v_mul_lo_u32 v4, s0, v4
	v_mul_lo_u32 v6, s1, v5
	v_mad_u64_u32 v[1:2], s[0:1], s0, v5, v[1:2]
	s_addc_u32 s17, s17, 0
	s_add_u32 s6, s6, 8
	v_add3_u32 v2, v6, v2, v4
	v_mov_b32_e32 v4, s10
	v_mov_b32_e32 v5, s11
	s_addc_u32 s7, s7, 0
	v_cmp_ge_u64_e32 vcc, s[16:17], v[4:5]
	s_add_u32 s14, s14, 8
	s_addc_u32 s15, s15, 0
	s_cbranch_vccnz .LBB0_9
; %bb.7:                                ;   in Loop: Header=BB0_2 Depth=1
	v_mov_b32_e32 v5, v7
	v_mov_b32_e32 v6, v8
	s_branch .LBB0_2
.LBB0_8:
	v_mov_b32_e32 v8, v6
	v_mov_b32_e32 v7, v5
.LBB0_9:
	s_lshl_b64 s[0:1], s[10:11], 3
	s_add_u32 s0, s12, s0
	s_addc_u32 s1, s13, s1
	s_load_dwordx2 s[6:7], s[0:1], 0x0
	s_load_dwordx2 s[10:11], s[4:5], 0x20
	v_mov_b32_e32 v82, 0
                                        ; implicit-def: $vgpr14_vgpr15
                                        ; implicit-def: $vgpr18_vgpr19
                                        ; implicit-def: $vgpr10_vgpr11
                                        ; implicit-def: $vgpr26_vgpr27
                                        ; implicit-def: $vgpr30_vgpr31
                                        ; implicit-def: $vgpr22_vgpr23
                                        ; implicit-def: $vgpr58_vgpr59
                                        ; implicit-def: $vgpr42_vgpr43
                                        ; implicit-def: $vgpr38_vgpr39
                                        ; implicit-def: $vgpr46_vgpr47
                                        ; implicit-def: $vgpr50_vgpr51
                                        ; implicit-def: $vgpr62_vgpr63
                                        ; implicit-def: $vgpr54_vgpr55
                                        ; implicit-def: $vgpr34_vgpr35
	s_waitcnt lgkmcnt(0)
	v_mad_u64_u32 v[1:2], s[0:1], s6, v7, v[1:2]
	v_mul_lo_u32 v3, s6, v8
	v_mul_lo_u32 v4, s7, v7
	s_mov_b32 s0, 0x3333334
	v_mul_hi_u32 v5, v0, s0
	v_cmp_gt_u64_e32 vcc, s[10:11], v[7:8]
	v_add3_u32 v2, v4, v2, v3
	v_lshlrev_b64 v[80:81], 4, v[1:2]
	v_mul_u32_u24_e32 v3, 0x50, v5
	v_sub_u32_e32 v83, v0, v3
                                        ; implicit-def: $vgpr2_vgpr3
                                        ; implicit-def: $vgpr6_vgpr7
	s_and_saveexec_b64 s[4:5], vcc
	s_cbranch_execz .LBB0_11
; %bb.10:
	v_mov_b32_e32 v84, 0
	v_mov_b32_e32 v0, s3
	v_add_co_u32_e64 v20, s[0:1], s2, v80
	v_addc_co_u32_e64 v21, s[0:1], v0, v81, s[0:1]
	v_lshlrev_b64 v[0:1], 4, v[83:84]
	v_or_b32_e32 v10, 0x280, v83
	v_add_co_u32_e64 v8, s[0:1], v20, v0
	v_addc_co_u32_e64 v9, s[0:1], v21, v1, s[0:1]
	s_movk_i32 s0, 0x1000
	v_add_co_u32_e64 v64, s[0:1], s0, v8
	v_addc_co_u32_e64 v65, s[0:1], 0, v9, s[0:1]
	s_movk_i32 s0, 0x2000
	v_mov_b32_e32 v11, v84
	v_add_co_u32_e64 v66, s[0:1], s0, v8
	v_lshlrev_b64 v[10:11], 4, v[10:11]
	v_addc_co_u32_e64 v67, s[0:1], 0, v9, s[0:1]
	v_add_co_u32_e64 v68, s[0:1], v20, v10
	v_addc_co_u32_e64 v69, s[0:1], v21, v11, s[0:1]
	s_movk_i32 s0, 0x3000
	v_add_co_u32_e64 v70, s[0:1], s0, v8
	v_addc_co_u32_e64 v71, s[0:1], 0, v9, s[0:1]
	s_movk_i32 s0, 0x4000
	v_add_co_u32_e64 v72, s[0:1], s0, v8
	global_load_dwordx4 v[4:7], v[8:9], off
	global_load_dwordx4 v[0:3], v[8:9], off offset:1280
	global_load_dwordx4 v[12:15], v[8:9], off offset:2560
	;; [unrolled: 1-line block ×3, first 2 shown]
	v_addc_co_u32_e64 v73, s[0:1], 0, v9, s[0:1]
	global_load_dwordx4 v[8:11], v[64:65], off offset:1024
	global_load_dwordx4 v[24:27], v[64:65], off offset:2304
	;; [unrolled: 1-line block ×4, first 2 shown]
	global_load_dwordx4 v[20:23], v[68:69], off
	global_load_dwordx4 v[52:55], v[66:67], off offset:3328
	global_load_dwordx4 v[56:59], v[70:71], off offset:512
	global_load_dwordx4 v[40:43], v[70:71], off offset:1792
	global_load_dwordx4 v[36:39], v[70:71], off offset:3072
	global_load_dwordx4 v[44:47], v[72:73], off offset:256
	global_load_dwordx4 v[48:51], v[72:73], off offset:1536
	global_load_dwordx4 v[60:63], v[72:73], off offset:2816
	v_mov_b32_e32 v82, v83
.LBB0_11:
	s_or_b64 exec, exec, s[4:5]
	s_waitcnt vmcnt(7)
	v_add_f64 v[20:21], v[4:5], -v[20:21]
	s_waitcnt vmcnt(5)
	v_add_f64 v[64:65], v[12:13], -v[56:57]
	v_add_f64 v[68:69], v[2:3], -v[54:55]
	s_waitcnt vmcnt(0)
	v_add_f64 v[54:55], v[28:29], -v[60:61]
	v_add_f64 v[42:43], v[18:19], -v[42:43]
	;; [unrolled: 1-line block ×11, first 2 shown]
	v_fma_f64 v[28:29], v[28:29], 2.0, -v[54:55]
	v_add_f64 v[76:77], v[42:43], -v[54:55]
	v_add_f64 v[54:55], v[8:9], -v[36:37]
	v_add_f64 v[78:79], v[56:57], v[20:21]
	v_add_f64 v[84:85], v[64:65], v[50:51]
	v_fma_f64 v[0:1], v[0:1], 2.0, -v[52:53]
	v_add_f64 v[70:71], v[46:47], v[52:53]
	v_add_f64 v[74:75], v[40:41], v[62:63]
	v_fma_f64 v[24:25], v[24:25], 2.0, -v[44:45]
	v_fma_f64 v[16:17], v[16:17], 2.0, -v[40:41]
	v_add_f64 v[36:37], v[68:69], -v[44:45]
	v_fma_f64 v[12:13], v[12:13], 2.0, -v[64:65]
	v_fma_f64 v[32:33], v[32:33], 2.0, -v[48:49]
	;; [unrolled: 1-line block ×5, first 2 shown]
	v_add_f64 v[48:49], v[66:67], -v[48:49]
	v_fma_f64 v[90:91], v[64:65], 2.0, -v[84:85]
	s_mov_b32 s0, 0x667f3bcd
	s_mov_b32 s1, 0x3fe6a09e
	;; [unrolled: 1-line block ×4, first 2 shown]
	v_fma_f64 v[38:39], v[52:53], 2.0, -v[70:71]
	v_fma_f64 v[40:41], v[40:41], 2.0, -v[74:75]
	;; [unrolled: 1-line block ×4, first 2 shown]
	v_add_f64 v[88:89], v[4:5], -v[8:9]
	v_add_f64 v[58:59], v[12:13], -v[32:33]
	;; [unrolled: 1-line block ×4, first 2 shown]
	v_fma_f64 v[92:93], v[66:67], 2.0, -v[48:49]
	v_fma_f64 v[32:33], v[90:91], s[14:15], v[20:21]
	v_fma_f64 v[8:9], v[40:41], s[14:15], v[38:39]
	v_fma_f64 v[26:27], v[26:27], 2.0, -v[46:47]
	v_fma_f64 v[4:5], v[4:5], 2.0, -v[88:89]
	;; [unrolled: 1-line block ×6, first 2 shown]
	v_fma_f64 v[30:31], v[44:45], s[14:15], v[86:87]
	v_fma_f64 v[46:47], v[92:93], s[0:1], v[32:33]
	v_fma_f64 v[60:61], v[14:15], 2.0, -v[66:67]
	v_fma_f64 v[14:15], v[34:35], 2.0, -v[50:51]
	;; [unrolled: 1-line block ×4, first 2 shown]
	v_fma_f64 v[8:9], v[44:45], s[0:1], v[8:9]
	v_add_f64 v[44:45], v[4:5], -v[12:13]
	v_add_f64 v[12:13], v[64:65], -v[0:1]
	v_fma_f64 v[0:1], v[40:41], s[14:15], v[30:31]
	v_fma_f64 v[30:31], v[20:21], 2.0, -v[46:47]
	v_fma_f64 v[20:21], v[74:75], s[0:1], v[70:71]
	v_add_f64 v[72:73], v[60:61], -v[14:15]
	v_fma_f64 v[14:15], v[84:85], s[0:1], v[78:79]
	v_add_f64 v[16:17], v[18:19], -v[16:17]
	v_fma_f64 v[32:33], v[4:5], 2.0, -v[44:45]
	v_fma_f64 v[4:5], v[64:65], 2.0, -v[12:13]
	v_fma_f64 v[34:35], v[76:77], s[0:1], v[36:37]
	v_fma_f64 v[52:53], v[38:39], 2.0, -v[8:9]
	v_fma_f64 v[64:65], v[76:77], s[0:1], v[20:21]
	v_add_f64 v[40:41], v[72:73], v[88:89]
	v_fma_f64 v[42:43], v[48:49], s[0:1], v[14:15]
	v_add_f64 v[14:15], v[2:3], -v[26:27]
	v_add_f64 v[50:51], v[16:17], v[24:25]
	s_mov_b32 s4, 0xcf328d46
	v_fma_f64 v[68:69], v[74:75], s[14:15], v[34:35]
	s_mov_b32 s5, 0xbfed906b
	v_fma_f64 v[66:67], v[70:71], 2.0, -v[64:65]
	v_fma_f64 v[34:35], v[88:89], 2.0, -v[40:41]
	;; [unrolled: 1-line block ×3, first 2 shown]
	v_add_f64 v[88:89], v[14:15], -v[28:29]
	v_fma_f64 v[74:75], v[24:25], 2.0, -v[50:51]
	v_fma_f64 v[76:77], v[2:3], 2.0, -v[14:15]
	;; [unrolled: 1-line block ×3, first 2 shown]
	s_mov_b32 s6, 0xa6aea964
	v_fma_f64 v[62:63], v[86:87], 2.0, -v[0:1]
	s_mov_b32 s7, 0x3fd87de2
	v_fma_f64 v[20:21], v[52:53], s[4:5], v[30:31]
	s_mov_b32 s11, 0xbfd87de2
	s_mov_b32 s10, s6
	v_fma_f64 v[70:71], v[36:37], 2.0, -v[68:69]
	v_fma_f64 v[78:79], v[14:15], 2.0, -v[88:89]
	v_fma_f64 v[18:19], v[74:75], s[14:15], v[34:35]
	v_fma_f64 v[24:25], v[66:67], s[10:11], v[38:39]
	s_mov_b32 s13, 0x3fed906b
	s_mov_b32 s12, s4
	v_add_f64 v[86:87], v[76:77], -v[2:3]
	v_fma_f64 v[2:3], v[8:9], s[6:7], v[46:47]
	v_fma_f64 v[28:29], v[50:51], s[0:1], v[40:41]
	;; [unrolled: 1-line block ×3, first 2 shown]
	v_add_f64 v[14:15], v[32:33], -v[4:5]
	v_fma_f64 v[16:17], v[62:63], s[6:7], v[20:21]
	v_fma_f64 v[18:19], v[78:79], s[0:1], v[18:19]
	;; [unrolled: 1-line block ×3, first 2 shown]
	v_add_f64 v[24:25], v[86:87], v[44:45]
	v_fma_f64 v[26:27], v[0:1], s[12:13], v[2:3]
	v_fma_f64 v[2:3], v[88:89], s[0:1], v[28:29]
	;; [unrolled: 1-line block ×3, first 2 shown]
	v_fma_f64 v[28:29], v[32:33], 2.0, -v[14:15]
	v_fma_f64 v[30:31], v[30:31], 2.0, -v[16:17]
	;; [unrolled: 1-line block ×8, first 2 shown]
	v_lshl_add_u32 v103, v83, 7, 0
	v_mul_f64 v[90:91], v[90:91], s[0:1]
	v_mul_f64 v[94:95], v[92:93], s[0:1]
	;; [unrolled: 1-line block ×8, first 2 shown]
	s_movk_i32 s0, 0xff88
	v_mad_i32_i24 v102, v83, s0, v103
	ds_write_b128 v103, v[28:31]
	ds_write_b128 v103, v[32:35] offset:16
	ds_write_b128 v103, v[36:39] offset:32
	;; [unrolled: 1-line block ×7, first 2 shown]
	s_waitcnt lgkmcnt(0)
	s_barrier
	v_add_u32_e32 v104, 0x400, v102
	v_add_u32_e32 v105, 0x1000, v102
	;; [unrolled: 1-line block ×6, first 2 shown]
	ds_read_b64 v[98:99], v102 offset:9472
	ds_read2_b64 v[18:21], v102 offset1:80
	ds_read2_b64 v[14:17], v104 offset0:32 offset1:128
	ds_read2_b64 v[48:51], v105 offset1:80
	ds_read2_b64 v[36:39], v106 offset0:32 offset1:128
	;; [unrolled: 2-line block ×3, first 2 shown]
	ds_read2_b64 v[32:35], v109 offset0:80 offset1:160
	v_cmp_gt_u32_e64 s[0:1], 16, v83
                                        ; implicit-def: $vgpr96_vgpr97
                                        ; implicit-def: $vgpr26_vgpr27
                                        ; implicit-def: $vgpr30_vgpr31
	s_and_saveexec_b64 s[14:15], s[0:1]
	s_cbranch_execz .LBB0_13
; %bb.12:
	v_add_u32_e32 v2, 0x180, v102
	ds_read2st64_b64 v[28:31], v2 offset0:3 offset1:7
	ds_read2st64_b64 v[24:27], v2 offset0:11 offset1:15
	ds_read_b64 v[96:97], v102 offset:10112
	s_waitcnt lgkmcnt(2)
	v_mov_b32_e32 v4, v28
	v_mov_b32_e32 v5, v29
.LBB0_13:
	s_or_b64 exec, exec, s[14:15]
	v_add_f64 v[2:3], v[6:7], -v[22:23]
	v_fma_f64 v[10:11], v[10:11], 2.0, -v[56:57]
	v_fma_f64 v[56:57], v[60:61], 2.0, -v[72:73]
	s_waitcnt lgkmcnt(0)
	s_barrier
	v_add_f64 v[22:23], v[2:3], -v[54:55]
	v_fma_f64 v[6:7], v[6:7], 2.0, -v[2:3]
	v_fma_f64 v[2:3], v[2:3], 2.0, -v[22:23]
	v_add_f64 v[10:11], v[6:7], -v[10:11]
	v_add_f64 v[28:29], v[22:23], v[100:101]
                                        ; implicit-def: $vgpr100_vgpr101
	v_add_f64 v[54:55], v[2:3], -v[94:95]
	v_add_f64 v[58:59], v[10:11], -v[58:59]
	;; [unrolled: 1-line block ×3, first 2 shown]
	v_fma_f64 v[6:7], v[6:7], 2.0, -v[10:11]
	v_add_f64 v[72:73], v[54:55], -v[90:91]
	v_fma_f64 v[54:55], v[76:77], 2.0, -v[86:87]
	v_fma_f64 v[76:77], v[10:11], 2.0, -v[58:59]
	;; [unrolled: 1-line block ×3, first 2 shown]
	v_add_f64 v[86:87], v[6:7], -v[56:57]
	v_fma_f64 v[10:11], v[68:69], s[12:13], v[28:29]
	v_fma_f64 v[90:91], v[2:3], 2.0, -v[72:73]
	v_add_f64 v[2:3], v[88:89], v[58:59]
	v_add_f64 v[56:57], v[76:77], -v[84:85]
	v_fma_f64 v[60:61], v[70:71], s[10:11], v[22:23]
	v_fma_f64 v[68:69], v[0:1], s[6:7], v[72:73]
	v_fma_f64 v[70:71], v[6:7], 2.0, -v[86:87]
	v_add_f64 v[6:7], v[86:87], -v[12:13]
	v_fma_f64 v[62:63], v[62:63], s[4:5], v[90:91]
	v_add_f64 v[0:1], v[2:3], -v[78:79]
	v_fma_f64 v[2:3], v[64:65], s[10:11], v[10:11]
	;; [unrolled: 2-line block ×3, first 2 shown]
	v_fma_f64 v[8:9], v[8:9], s[4:5], v[68:69]
	v_add_f64 v[54:55], v[70:71], -v[54:55]
	v_fma_f64 v[56:57], v[52:53], s[10:11], v[62:63]
	v_fma_f64 v[58:59], v[58:59], 2.0, -v[0:1]
	v_fma_f64 v[60:61], v[28:29], 2.0, -v[2:3]
	v_fma_f64 v[66:67], v[76:77], 2.0, -v[10:11]
	v_fma_f64 v[68:69], v[22:23], 2.0, -v[12:13]
	v_fma_f64 v[62:63], v[86:87], 2.0, -v[6:7]
	v_fma_f64 v[64:65], v[72:73], 2.0, -v[8:9]
	v_fma_f64 v[70:71], v[70:71], 2.0, -v[54:55]
	v_fma_f64 v[72:73], v[90:91], 2.0, -v[56:57]
	ds_write_b128 v103, v[0:3] offset:112
	ds_write_b128 v103, v[58:61] offset:48
	;; [unrolled: 1-line block ×7, first 2 shown]
	ds_write_b128 v103, v[70:73]
	s_waitcnt lgkmcnt(0)
	s_barrier
	ds_read2_b64 v[10:13], v102 offset1:80
	ds_read2_b64 v[6:9], v104 offset0:32 offset1:128
	ds_read2_b64 v[76:79], v105 offset1:80
	ds_read2_b64 v[64:67], v106 offset0:32 offset1:128
	;; [unrolled: 2-line block ×3, first 2 shown]
	ds_read2_b64 v[60:63], v109 offset0:80 offset1:160
	ds_read_b64 v[0:1], v102 offset:9472
                                        ; implicit-def: $vgpr54_vgpr55
                                        ; implicit-def: $vgpr58_vgpr59
	s_and_saveexec_b64 s[4:5], s[0:1]
	s_cbranch_execz .LBB0_15
; %bb.14:
	v_add_u32_e32 v2, 0x180, v102
	ds_read2st64_b64 v[56:59], v2 offset0:3 offset1:7
	ds_read2st64_b64 v[52:55], v2 offset0:11 offset1:15
	ds_read_b64 v[100:101], v102 offset:10112
	s_waitcnt lgkmcnt(2)
	v_mov_b32_e32 v2, v56
	v_mov_b32_e32 v3, v57
.LBB0_15:
	s_or_b64 exec, exec, s[4:5]
	v_and_b32_e32 v105, 15, v83
	v_lshlrev_b32_e32 v22, 6, v105
	global_load_dwordx4 v[106:109], v22, s[8:9] offset:48
	global_load_dwordx4 v[110:113], v22, s[8:9] offset:32
	;; [unrolled: 1-line block ×3, first 2 shown]
	global_load_dwordx4 v[118:121], v22, s[8:9]
	s_mov_b32 s6, 0x134454ff
	s_mov_b32 s7, 0xbfee6f0e
	;; [unrolled: 1-line block ×10, first 2 shown]
	v_add_u32_e32 v104, 0x50, v83
	v_add_u32_e32 v103, 0xa0, v83
	s_waitcnt vmcnt(0) lgkmcnt(6)
	v_mul_f64 v[22:23], v[8:9], v[120:121]
	v_fma_f64 v[88:89], v[16:17], v[118:119], v[22:23]
	v_mul_f64 v[16:17], v[16:17], v[120:121]
	v_fma_f64 v[84:85], v[8:9], v[118:119], -v[16:17]
	s_waitcnt lgkmcnt(5)
	v_mul_f64 v[8:9], v[76:77], v[116:117]
	s_waitcnt lgkmcnt(4)
	v_mul_f64 v[16:17], v[64:65], v[116:117]
	v_fma_f64 v[90:91], v[48:49], v[114:115], v[8:9]
	v_mul_f64 v[8:9], v[48:49], v[116:117]
	v_fma_f64 v[86:87], v[76:77], v[114:115], -v[8:9]
	v_mul_f64 v[8:9], v[66:67], v[112:113]
	v_fma_f64 v[92:93], v[38:39], v[110:111], v[8:9]
	v_mul_f64 v[8:9], v[38:39], v[112:113]
	v_fma_f64 v[76:77], v[66:67], v[110:111], -v[8:9]
	s_waitcnt lgkmcnt(3)
	v_mul_f64 v[8:9], v[72:73], v[108:109]
	v_fma_f64 v[94:95], v[44:45], v[106:107], v[8:9]
	v_mul_f64 v[8:9], v[44:45], v[108:109]
	v_fma_f64 v[56:57], v[72:73], v[106:107], -v[8:9]
	s_waitcnt lgkmcnt(2)
	v_mul_f64 v[8:9], v[68:69], v[120:121]
	v_fma_f64 v[72:73], v[40:41], v[118:119], v[8:9]
	v_mul_f64 v[8:9], v[40:41], v[120:121]
	v_fma_f64 v[40:41], v[36:37], v[114:115], v[16:17]
	v_mul_f64 v[16:17], v[36:37], v[116:117]
	v_fma_f64 v[44:45], v[68:69], v[118:119], -v[8:9]
	v_mul_f64 v[8:9], v[78:79], v[116:117]
	v_fma_f64 v[22:23], v[64:65], v[114:115], -v[16:17]
	s_waitcnt lgkmcnt(1)
	v_mul_f64 v[16:17], v[62:63], v[112:113]
	v_fma_f64 v[66:67], v[50:51], v[114:115], v[8:9]
	v_mul_f64 v[8:9], v[50:51], v[116:117]
	v_fma_f64 v[36:37], v[34:35], v[110:111], v[16:17]
	v_mul_f64 v[16:17], v[34:35], v[112:113]
	s_waitcnt lgkmcnt(0)
	v_mul_f64 v[34:35], v[0:1], v[108:109]
	v_fma_f64 v[48:49], v[78:79], v[114:115], -v[8:9]
	v_mul_f64 v[8:9], v[60:61], v[112:113]
	v_fma_f64 v[16:17], v[62:63], v[110:111], -v[16:17]
	v_fma_f64 v[34:35], v[98:99], v[106:107], v[34:35]
	v_fma_f64 v[68:69], v[32:33], v[110:111], v[8:9]
	v_mul_f64 v[8:9], v[32:33], v[112:113]
	v_fma_f64 v[28:29], v[60:61], v[110:111], -v[8:9]
	v_mul_f64 v[8:9], v[74:75], v[108:109]
	v_fma_f64 v[78:79], v[46:47], v[106:107], v[8:9]
	v_mul_f64 v[8:9], v[46:47], v[108:109]
	v_fma_f64 v[38:39], v[74:75], v[106:107], -v[8:9]
	v_mul_f64 v[8:9], v[70:71], v[120:121]
	v_add_f64 v[74:75], v[88:89], -v[90:91]
	v_fma_f64 v[32:33], v[42:43], v[118:119], v[8:9]
	v_mul_f64 v[8:9], v[42:43], v[120:121]
	v_mul_f64 v[42:43], v[98:99], v[108:109]
	v_add_f64 v[98:99], v[92:93], -v[94:95]
	v_fma_f64 v[8:9], v[70:71], v[118:119], -v[8:9]
	v_fma_f64 v[0:1], v[0:1], v[106:107], -v[42:43]
	v_lshlrev_b32_e32 v42, 6, v83
	v_and_b32_e32 v42, 0x3c0, v42
	global_load_dwordx4 v[106:109], v42, s[8:9] offset:48
	global_load_dwordx4 v[110:113], v42, s[8:9] offset:32
	global_load_dwordx4 v[114:117], v42, s[8:9] offset:16
	global_load_dwordx4 v[118:121], v42, s[8:9]
	v_add_f64 v[70:71], v[86:87], -v[76:77]
	s_waitcnt vmcnt(0)
	s_barrier
	v_mul_f64 v[42:43], v[58:59], v[120:121]
	v_fma_f64 v[62:63], v[30:31], v[118:119], v[42:43]
	v_mul_f64 v[30:31], v[30:31], v[120:121]
	v_fma_f64 v[50:51], v[58:59], v[118:119], -v[30:31]
	v_mul_f64 v[30:31], v[52:53], v[116:117]
	v_add_f64 v[118:119], v[36:37], -v[34:35]
	v_fma_f64 v[58:59], v[24:25], v[114:115], v[30:31]
	v_mul_f64 v[24:25], v[24:25], v[116:117]
	v_add_f64 v[30:31], v[84:85], -v[56:57]
	v_add_f64 v[116:117], v[34:35], -v[36:37]
	v_fma_f64 v[52:53], v[52:53], v[114:115], -v[24:25]
	v_mul_f64 v[24:25], v[54:55], v[112:113]
	v_add_f64 v[114:115], v[32:33], -v[40:41]
	v_fma_f64 v[60:61], v[26:27], v[110:111], v[24:25]
	v_mul_f64 v[24:25], v[26:27], v[112:113]
	v_add_f64 v[26:27], v[90:91], v[92:93]
	v_add_f64 v[112:113], v[22:23], -v[16:17]
	v_add_f64 v[114:115], v[114:115], v[116:117]
	v_add_f64 v[116:117], v[40:41], -v[32:33]
	v_fma_f64 v[46:47], v[54:55], v[110:111], -v[24:25]
	v_mul_f64 v[24:25], v[100:101], v[108:109]
	v_fma_f64 v[26:27], v[26:27], -0.5, v[18:19]
	v_add_f64 v[110:111], v[68:69], -v[78:79]
	v_add_f64 v[116:117], v[116:117], v[118:119]
	v_fma_f64 v[54:55], v[96:97], v[106:107], v[24:25]
	v_mul_f64 v[24:25], v[96:97], v[108:109]
	v_fma_f64 v[64:65], v[30:31], s[6:7], v[26:27]
	v_add_f64 v[96:97], v[94:95], -v[92:93]
	v_fma_f64 v[26:27], v[30:31], s[12:13], v[26:27]
	v_add_f64 v[108:109], v[78:79], -v[68:69]
	v_fma_f64 v[42:43], v[100:101], v[106:107], -v[24:25]
	v_fma_f64 v[64:65], v[70:71], s[4:5], v[64:65]
	v_add_f64 v[74:75], v[74:75], v[96:97]
	v_add_f64 v[24:25], v[18:19], v[88:89]
	v_fma_f64 v[26:27], v[70:71], s[14:15], v[26:27]
	v_add_f64 v[100:101], v[48:49], -v[28:29]
	v_add_f64 v[106:107], v[72:73], -v[66:67]
	v_fma_f64 v[96:97], v[74:75], s[10:11], v[64:65]
	v_add_f64 v[64:65], v[88:89], v[94:95]
	v_fma_f64 v[26:27], v[74:75], s[10:11], v[26:27]
	v_add_f64 v[74:75], v[90:91], -v[88:89]
	v_add_f64 v[106:107], v[106:107], v[108:109]
	v_add_f64 v[108:109], v[66:67], -v[72:73]
	v_add_f64 v[24:25], v[24:25], v[90:91]
	v_fma_f64 v[18:19], v[64:65], -0.5, v[18:19]
	v_add_f64 v[74:75], v[74:75], v[98:99]
	v_add_f64 v[108:109], v[108:109], v[110:111]
	;; [unrolled: 1-line block ×3, first 2 shown]
	v_fma_f64 v[64:65], v[70:71], s[12:13], v[18:19]
	v_fma_f64 v[18:19], v[70:71], s[6:7], v[18:19]
	v_add_f64 v[70:71], v[44:45], -v[38:39]
	v_add_f64 v[24:25], v[24:25], v[94:95]
	v_fma_f64 v[64:65], v[30:31], s[4:5], v[64:65]
	v_fma_f64 v[18:19], v[30:31], s[14:15], v[18:19]
	v_add_f64 v[30:31], v[20:21], v[72:73]
	v_fma_f64 v[98:99], v[74:75], s[10:11], v[64:65]
	v_add_f64 v[64:65], v[66:67], v[68:69]
	;; [unrolled: 2-line block ×3, first 2 shown]
	v_fma_f64 v[64:65], v[64:65], -0.5, v[20:21]
	v_add_f64 v[30:31], v[30:31], v[68:69]
	v_fma_f64 v[74:75], v[70:71], s[6:7], v[64:65]
	v_fma_f64 v[64:65], v[70:71], s[12:13], v[64:65]
	v_add_f64 v[30:31], v[30:31], v[78:79]
	v_fma_f64 v[74:75], v[100:101], s[4:5], v[74:75]
	v_fma_f64 v[64:65], v[100:101], s[14:15], v[64:65]
	;; [unrolled: 1-line block ×4, first 2 shown]
	v_add_f64 v[64:65], v[72:73], v[78:79]
	v_fma_f64 v[20:21], v[64:65], -0.5, v[20:21]
	v_fma_f64 v[64:65], v[100:101], s[12:13], v[20:21]
	v_fma_f64 v[20:21], v[100:101], s[6:7], v[20:21]
	;; [unrolled: 1-line block ×4, first 2 shown]
	v_add_f64 v[70:71], v[8:9], -v[0:1]
	v_fma_f64 v[110:111], v[108:109], s[10:11], v[64:65]
	v_add_f64 v[64:65], v[14:15], v[32:33]
	v_fma_f64 v[20:21], v[108:109], s[10:11], v[20:21]
	v_add_f64 v[64:65], v[64:65], v[40:41]
	v_add_f64 v[64:65], v[64:65], v[36:37]
	;; [unrolled: 1-line block ×4, first 2 shown]
	v_fma_f64 v[64:65], v[64:65], -0.5, v[14:15]
	v_fma_f64 v[108:109], v[70:71], s[6:7], v[64:65]
	v_fma_f64 v[64:65], v[70:71], s[12:13], v[64:65]
	;; [unrolled: 1-line block ×6, first 2 shown]
	v_add_f64 v[64:65], v[32:33], v[34:35]
	v_fma_f64 v[14:15], v[64:65], -0.5, v[14:15]
	v_fma_f64 v[64:65], v[112:113], s[12:13], v[14:15]
	v_fma_f64 v[14:15], v[112:113], s[6:7], v[14:15]
	;; [unrolled: 1-line block ×5, first 2 shown]
	v_lshrrev_b32_e32 v64, 4, v83
	v_mul_u32_u24_e32 v64, 0x50, v64
	v_or_b32_e32 v64, v64, v105
	v_lshl_add_u32 v65, v64, 3, 0
	v_fma_f64 v[14:15], v[116:117], s[10:11], v[14:15]
	ds_write2_b64 v65, v[24:25], v[96:97] offset1:16
	ds_write2_b64 v65, v[98:99], v[18:19] offset0:32 offset1:48
	ds_write_b64 v65, v[26:27] offset:512
	v_lshrrev_b32_e32 v18, 4, v104
	v_mul_u32_u24_e32 v18, 0x50, v18
	v_or_b32_e32 v18, v18, v105
	v_lshl_add_u32 v70, v18, 3, 0
	v_lshrrev_b32_e32 v18, 4, v103
	v_mul_u32_u24_e32 v18, 0x50, v18
	v_or_b32_e32 v18, v18, v105
	v_lshl_add_u32 v71, v18, 3, 0
	v_lshl_add_u32 v64, v83, 3, 0
	ds_write2_b64 v70, v[30:31], v[74:75] offset1:16
	ds_write2_b64 v70, v[110:111], v[20:21] offset0:32 offset1:48
	ds_write_b64 v70, v[106:107] offset:512
	ds_write2_b64 v71, v[100:101], v[108:109] offset1:16
	ds_write2_b64 v71, v[118:119], v[14:15] offset0:32 offset1:48
	ds_write_b64 v71, v[114:115] offset:512
	s_and_saveexec_b64 s[16:17], s[0:1]
	s_cbranch_execz .LBB0_17
; %bb.16:
	v_add_f64 v[14:15], v[62:63], v[54:55]
	v_add_f64 v[18:19], v[58:59], v[60:61]
	v_add_f64 v[20:21], v[50:51], -v[42:43]
	v_add_f64 v[26:27], v[4:5], v[62:63]
	v_add_f64 v[24:25], v[52:53], -v[46:47]
	v_add_f64 v[30:31], v[60:61], -v[54:55]
	v_add_f64 v[74:75], v[62:63], -v[58:59]
	v_add_f64 v[96:97], v[54:55], -v[60:61]
	v_fma_f64 v[14:15], v[14:15], -0.5, v[4:5]
	v_fma_f64 v[4:5], v[18:19], -0.5, v[4:5]
	v_add_f64 v[18:19], v[58:59], -v[62:63]
	v_add_f64 v[26:27], v[26:27], v[58:59]
	v_fma_f64 v[98:99], v[24:25], s[6:7], v[14:15]
	v_fma_f64 v[100:101], v[20:21], s[6:7], v[4:5]
	v_fma_f64 v[14:15], v[24:25], s[12:13], v[14:15]
	v_fma_f64 v[4:5], v[20:21], s[12:13], v[4:5]
	v_add_f64 v[18:19], v[18:19], v[30:31]
	v_add_f64 v[30:31], v[74:75], v[96:97]
	;; [unrolled: 1-line block ×3, first 2 shown]
	v_fma_f64 v[74:75], v[20:21], s[14:15], v[98:99]
	v_fma_f64 v[96:97], v[24:25], s[4:5], v[100:101]
	;; [unrolled: 1-line block ×4, first 2 shown]
	v_add_f64 v[20:21], v[26:27], v[54:55]
	v_fma_f64 v[24:25], v[18:19], s[10:11], v[74:75]
	v_fma_f64 v[26:27], v[30:31], s[10:11], v[96:97]
	;; [unrolled: 1-line block ×4, first 2 shown]
	v_add_u32_e32 v18, 0x2000, v64
	ds_write2_b64 v18, v[20:21], v[26:27] offset0:176 offset1:192
	ds_write2_b64 v18, v[14:15], v[24:25] offset0:208 offset1:224
	ds_write_b64 v64, v[4:5] offset:10112
.LBB0_17:
	s_or_b64 exec, exec, s[16:17]
	v_add_f64 v[4:5], v[10:11], v[84:85]
	v_add_f64 v[14:15], v[86:87], v[76:77]
	;; [unrolled: 1-line block ×3, first 2 shown]
	v_add_f64 v[18:19], v[88:89], -v[94:95]
	v_add_f64 v[20:21], v[90:91], -v[92:93]
	v_add_f64 v[74:75], v[48:49], v[28:29]
	v_add_f64 v[24:25], v[84:85], -v[86:87]
	v_add_f64 v[30:31], v[56:57], -v[76:77]
	v_add_f64 v[4:5], v[4:5], v[86:87]
	v_fma_f64 v[14:15], v[14:15], -0.5, v[10:11]
	v_fma_f64 v[10:11], v[26:27], -0.5, v[10:11]
	v_add_f64 v[84:85], v[86:87], -v[84:85]
	v_add_f64 v[86:87], v[12:13], v[44:45]
	v_add_f64 v[88:89], v[76:77], -v[56:57]
	v_add_f64 v[26:27], v[72:73], -v[78:79]
	v_fma_f64 v[74:75], v[74:75], -0.5, v[12:13]
	v_add_f64 v[4:5], v[4:5], v[76:77]
	v_fma_f64 v[72:73], v[18:19], s[12:13], v[14:15]
	v_fma_f64 v[14:15], v[18:19], s[6:7], v[14:15]
	;; [unrolled: 1-line block ×4, first 2 shown]
	v_add_f64 v[24:25], v[24:25], v[30:31]
	v_add_f64 v[30:31], v[86:87], v[48:49]
	v_add_f64 v[66:67], v[66:67], -v[68:69]
	v_add_f64 v[56:57], v[4:5], v[56:57]
	v_fma_f64 v[4:5], v[20:21], s[14:15], v[72:73]
	v_fma_f64 v[72:73], v[26:27], s[12:13], v[74:75]
	v_add_f64 v[68:69], v[44:45], -v[48:49]
	v_add_f64 v[78:79], v[38:39], -v[28:29]
	v_fma_f64 v[14:15], v[20:21], s[4:5], v[14:15]
	v_add_f64 v[20:21], v[44:45], v[38:39]
	v_fma_f64 v[76:77], v[18:19], s[14:15], v[76:77]
	v_add_f64 v[84:85], v[84:85], v[88:89]
	v_fma_f64 v[10:11], v[18:19], s[4:5], v[10:11]
	v_add_f64 v[18:19], v[30:31], v[28:29]
	v_fma_f64 v[30:31], v[66:67], s[14:15], v[72:73]
	v_add_f64 v[68:69], v[68:69], v[78:79]
	v_fma_f64 v[72:73], v[24:25], s[10:11], v[4:5]
	v_fma_f64 v[4:5], v[20:21], -0.5, v[12:13]
	v_add_f64 v[20:21], v[8:9], v[0:1]
	v_fma_f64 v[76:77], v[84:85], s[10:11], v[76:77]
	v_fma_f64 v[84:85], v[84:85], s[10:11], v[10:11]
	v_add_f64 v[10:11], v[22:23], v[16:17]
	v_fma_f64 v[78:79], v[24:25], s[10:11], v[14:15]
	v_add_f64 v[24:25], v[28:29], -v[38:39]
	v_add_f64 v[28:29], v[6:7], v[8:9]
	v_add_f64 v[86:87], v[18:19], v[38:39]
	v_fma_f64 v[88:89], v[68:69], s[10:11], v[30:31]
	v_add_f64 v[18:19], v[48:49], -v[44:45]
	v_add_f64 v[30:31], v[32:33], -v[34:35]
	v_fma_f64 v[10:11], v[10:11], -0.5, v[6:7]
	v_add_f64 v[32:33], v[40:41], -v[36:37]
	v_fma_f64 v[6:7], v[20:21], -0.5, v[6:7]
	v_add_f64 v[20:21], v[28:29], v[22:23]
	v_fma_f64 v[14:15], v[66:67], s[6:7], v[4:5]
	v_fma_f64 v[4:5], v[66:67], s[12:13], v[4:5]
	v_add_f64 v[18:19], v[18:19], v[24:25]
	v_add_f64 v[28:29], v[8:9], -v[22:23]
	v_fma_f64 v[24:25], v[30:31], s[12:13], v[10:11]
	v_add_f64 v[34:35], v[0:1], -v[16:17]
	v_fma_f64 v[10:11], v[30:31], s[6:7], v[10:11]
	v_fma_f64 v[36:37], v[32:33], s[6:7], v[6:7]
	v_add_f64 v[8:9], v[22:23], -v[8:9]
	v_add_f64 v[22:23], v[16:17], -v[0:1]
	v_fma_f64 v[12:13], v[26:27], s[6:7], v[74:75]
	v_fma_f64 v[6:7], v[32:33], s[12:13], v[6:7]
	v_add_f64 v[16:17], v[20:21], v[16:17]
	v_fma_f64 v[14:15], v[26:27], s[14:15], v[14:15]
	v_fma_f64 v[4:5], v[26:27], s[4:5], v[4:5]
	;; [unrolled: 1-line block ×3, first 2 shown]
	v_add_f64 v[24:25], v[28:29], v[34:35]
	v_fma_f64 v[10:11], v[32:33], s[4:5], v[10:11]
	v_fma_f64 v[26:27], v[30:31], s[14:15], v[36:37]
	v_add_f64 v[8:9], v[8:9], v[22:23]
	v_fma_f64 v[12:13], v[66:67], s[4:5], v[12:13]
	v_fma_f64 v[6:7], v[30:31], s[4:5], v[6:7]
	v_add_f64 v[40:41], v[16:17], v[0:1]
	v_add_u32_e32 v0, 0x400, v102
	v_fma_f64 v[36:37], v[18:19], s[10:11], v[14:15]
	v_fma_f64 v[38:39], v[18:19], s[10:11], v[4:5]
	s_waitcnt lgkmcnt(0)
	s_barrier
	ds_read2_b64 v[16:19], v0 offset0:32 offset1:192
	v_add_u32_e32 v0, 0x800, v102
	v_fma_f64 v[44:45], v[24:25], s[10:11], v[20:21]
	v_fma_f64 v[48:49], v[24:25], s[10:11], v[10:11]
	;; [unrolled: 1-line block ×3, first 2 shown]
	ds_read2_b64 v[24:27], v0 offset0:144 offset1:224
	v_add_u32_e32 v0, 0x1000, v102
	v_fma_f64 v[34:35], v[68:69], s[10:11], v[12:13]
	v_fma_f64 v[68:69], v[8:9], s[10:11], v[6:7]
	ds_read2_b64 v[8:11], v0 offset0:48 offset1:128
	v_add_u32_e32 v0, 0x1400, v102
	ds_read2_b64 v[12:15], v0 offset0:80 offset1:160
	v_add_u32_e32 v0, 0x1800, v102
	;; [unrolled: 2-line block ×3, first 2 shown]
	ds_read2_b64 v[4:7], v102 offset1:80
	ds_read2_b64 v[28:31], v0 offset0:16 offset1:96
	ds_read_b64 v[32:33], v64 offset:1920
	ds_read_b64 v[0:1], v102 offset:9600
	s_waitcnt lgkmcnt(0)
	s_barrier
	ds_write2_b64 v65, v[56:57], v[72:73] offset1:16
	ds_write2_b64 v65, v[76:77], v[84:85] offset0:32 offset1:48
	ds_write_b64 v65, v[78:79] offset:512
	ds_write2_b64 v70, v[86:87], v[88:89] offset1:16
	ds_write2_b64 v70, v[36:37], v[38:39] offset0:32 offset1:48
	ds_write_b64 v70, v[34:35] offset:512
	;; [unrolled: 3-line block ×3, first 2 shown]
	s_and_saveexec_b64 s[4:5], s[0:1]
	s_cbranch_execz .LBB0_19
; %bb.18:
	v_add_f64 v[34:35], v[52:53], v[46:47]
	v_add_f64 v[40:41], v[50:51], v[42:43]
	;; [unrolled: 1-line block ×3, first 2 shown]
	v_add_f64 v[38:39], v[62:63], -v[54:55]
	v_add_f64 v[44:45], v[58:59], -v[60:61]
	s_mov_b32 s0, 0x134454ff
	s_mov_b32 s1, 0x3fee6f0e
	v_add_f64 v[48:49], v[50:51], -v[52:53]
	v_fma_f64 v[34:35], v[34:35], -0.5, v[2:3]
	v_fma_f64 v[2:3], v[40:41], -0.5, v[2:3]
	v_add_f64 v[40:41], v[42:43], -v[46:47]
	s_mov_b32 s11, 0xbfee6f0e
	v_add_f64 v[50:51], v[52:53], -v[50:51]
	v_add_f64 v[36:37], v[36:37], v[52:53]
	s_mov_b32 s10, s0
	v_add_f64 v[54:55], v[46:47], -v[42:43]
	v_fma_f64 v[52:53], v[38:39], s[0:1], v[34:35]
	v_fma_f64 v[56:57], v[44:45], s[10:11], v[2:3]
	v_fma_f64 v[2:3], v[44:45], s[0:1], v[2:3]
	v_fma_f64 v[34:35], v[38:39], s[10:11], v[34:35]
	s_mov_b32 s6, 0x4755a5e
	s_mov_b32 s7, 0x3fe2cf23
	v_add_f64 v[40:41], v[48:49], v[40:41]
	v_add_f64 v[36:37], v[36:37], v[46:47]
	v_fma_f64 v[46:47], v[44:45], s[6:7], v[52:53]
	s_mov_b32 s1, 0xbfe2cf23
	s_mov_b32 s0, s6
	v_fma_f64 v[48:49], v[38:39], s[6:7], v[56:57]
	v_add_f64 v[50:51], v[50:51], v[54:55]
	v_fma_f64 v[2:3], v[38:39], s[0:1], v[2:3]
	v_fma_f64 v[34:35], v[44:45], s[0:1], v[34:35]
	s_mov_b32 s0, 0x372fe950
	s_mov_b32 s1, 0x3fd3c6ef
	v_add_f64 v[36:37], v[36:37], v[42:43]
	v_fma_f64 v[38:39], v[40:41], s[0:1], v[46:47]
	v_fma_f64 v[42:43], v[50:51], s[0:1], v[48:49]
	;; [unrolled: 1-line block ×4, first 2 shown]
	v_add_u32_e32 v40, 0x2000, v64
	ds_write2_b64 v40, v[36:37], v[38:39] offset0:176 offset1:192
	ds_write2_b64 v40, v[42:43], v[2:3] offset0:208 offset1:224
	ds_write_b64 v64, v[34:35] offset:10112
.LBB0_19:
	s_or_b64 exec, exec, s[4:5]
	s_waitcnt lgkmcnt(0)
	s_barrier
	s_and_saveexec_b64 s[0:1], vcc
	s_cbranch_execz .LBB0_21
; %bb.20:
	v_mul_u32_u24_e32 v2, 15, v83
	v_lshlrev_b32_e32 v2, 4, v2
	global_load_dwordx4 v[34:37], v2, s[8:9] offset:1056
	global_load_dwordx4 v[38:41], v2, s[8:9] offset:1040
	;; [unrolled: 1-line block ×15, first 2 shown]
	ds_read_b64 v[2:3], v64 offset:1920
	v_add_u32_e32 v77, 0x400, v102
	ds_read2_b64 v[107:110], v77 offset0:32 offset1:192
	v_add_u32_e32 v78, 0x1800, v102
	v_add_u32_e32 v79, 0x1400, v102
	v_add_u32_e32 v64, 0x800, v102
	ds_read2_b64 v[111:114], v78 offset0:112 offset1:192
	ds_read2_b64 v[115:118], v79 offset0:80 offset1:160
	;; [unrolled: 1-line block ×3, first 2 shown]
	v_add_u32_e32 v99, 0x2000, v102
	s_mov_b32 s0, 0x667f3bcd
	s_mov_b32 s1, 0x3fe6a09e
	;; [unrolled: 1-line block ×12, first 2 shown]
	s_movk_i32 s13, 0x1000
	s_movk_i32 s12, 0x2000
	s_waitcnt vmcnt(14)
	v_mul_f64 v[62:63], v[32:33], v[36:37]
	s_waitcnt lgkmcnt(4)
	v_mul_f64 v[36:37], v[2:3], v[36:37]
	s_waitcnt vmcnt(13)
	v_mul_f64 v[77:78], v[16:17], v[40:41]
	s_waitcnt lgkmcnt(3)
	v_mul_f64 v[40:41], v[107:108], v[40:41]
	v_fma_f64 v[62:63], v[2:3], v[34:35], -v[62:63]
	s_waitcnt vmcnt(12)
	v_mul_f64 v[2:3], v[14:15], v[44:45]
	v_fma_f64 v[34:35], v[32:33], v[34:35], v[36:37]
	s_waitcnt lgkmcnt(1)
	v_mul_f64 v[32:33], v[117:118], v[44:45]
	v_fma_f64 v[44:45], v[107:108], v[38:39], -v[77:78]
	v_fma_f64 v[38:39], v[16:17], v[38:39], v[40:41]
	s_waitcnt vmcnt(10)
	v_mul_f64 v[40:41], v[30:31], v[50:51]
	v_mul_f64 v[30:31], v[30:31], v[52:53]
	;; [unrolled: 1-line block ×4, first 2 shown]
	v_fma_f64 v[77:78], v[117:118], v[42:43], -v[2:3]
	v_fma_f64 v[42:43], v[14:15], v[42:43], v[32:33]
	ds_read2_b64 v[14:17], v99 offset0:16 offset1:96
	s_waitcnt vmcnt(9)
	v_mul_f64 v[32:33], v[111:112], v[56:57]
	v_mul_f64 v[2:3], v[20:21], v[56:57]
	s_waitcnt vmcnt(6)
	v_mul_f64 v[56:57], v[115:116], v[71:72]
	s_waitcnt lgkmcnt(1)
	v_fma_f64 v[36:37], v[121:122], v[48:49], v[36:37]
	s_waitcnt lgkmcnt(0)
	v_fma_f64 v[40:41], v[16:17], v[52:53], v[40:41]
	v_fma_f64 v[16:17], v[16:17], v[50:51], -v[30:31]
	v_mul_f64 v[30:31], v[0:1], v[58:59]
	v_mul_f64 v[0:1], v[0:1], v[60:61]
	v_fma_f64 v[26:27], v[121:122], v[46:47], -v[26:27]
	ds_read_b64 v[46:47], v102 offset:9600
	v_fma_f64 v[20:21], v[20:21], v[54:55], v[32:33]
	v_mul_f64 v[32:33], v[8:9], v[65:66]
	v_mul_f64 v[8:9], v[8:9], v[67:68]
	v_add_u32_e32 v52, 0x1000, v102
	v_fma_f64 v[48:49], v[111:112], v[54:55], -v[2:3]
	s_waitcnt lgkmcnt(0)
	v_fma_f64 v[50:51], v[46:47], v[60:61], v[30:31]
	v_fma_f64 v[46:47], v[46:47], v[58:59], -v[0:1]
	ds_read2_b64 v[0:3], v52 offset0:48 offset1:128
	v_mul_f64 v[52:53], v[12:13], v[71:72]
	s_waitcnt vmcnt(4)
	v_mul_f64 v[58:59], v[24:25], v[83:84]
	v_mul_f64 v[24:25], v[24:25], v[85:86]
	s_waitcnt vmcnt(3)
	v_mul_f64 v[60:61], v[28:29], v[87:88]
	s_waitcnt lgkmcnt(0)
	v_fma_f64 v[54:55], v[0:1], v[67:68], v[32:33]
	v_fma_f64 v[0:1], v[0:1], v[65:66], -v[8:9]
	v_mul_f64 v[8:9], v[10:11], v[75:76]
	ds_read2_b64 v[30:33], v102 offset1:80
	v_mul_f64 v[28:29], v[28:29], v[89:90]
	s_waitcnt vmcnt(2)
	v_mul_f64 v[64:65], v[18:19], v[91:92]
	v_mul_f64 v[18:19], v[18:19], v[93:94]
	s_waitcnt vmcnt(1)
	v_mul_f64 v[66:67], v[22:23], v[95:96]
	;; [unrolled: 3-line block ×3, first 2 shown]
	v_fma_f64 v[8:9], v[2:3], v[73:74], -v[8:9]
	v_mul_f64 v[2:3], v[2:3], v[75:76]
	s_waitcnt lgkmcnt(0)
	v_mul_f64 v[75:76], v[32:33], v[105:106]
	v_fma_f64 v[52:53], v[115:116], v[69:70], -v[52:53]
	v_fma_f64 v[64:65], v[109:110], v[93:94], v[64:65]
	v_fma_f64 v[66:67], v[113:114], v[97:98], v[66:67]
	;; [unrolled: 1-line block ×3, first 2 shown]
	v_fma_f64 v[32:33], v[32:33], v[103:104], -v[71:72]
	v_fma_f64 v[60:61], v[14:15], v[89:90], v[60:61]
	v_fma_f64 v[12:13], v[12:13], v[69:70], v[56:57]
	v_fma_f64 v[6:7], v[6:7], v[103:104], v[75:76]
	v_fma_f64 v[24:25], v[119:120], v[83:84], -v[24:25]
	v_fma_f64 v[14:15], v[14:15], v[87:88], -v[28:29]
	;; [unrolled: 1-line block ×4, first 2 shown]
	v_fma_f64 v[2:3], v[10:11], v[73:74], v[2:3]
	v_add_f64 v[8:9], v[30:31], -v[8:9]
	v_add_f64 v[10:11], v[64:65], -v[66:67]
	v_add_f64 v[28:29], v[44:45], -v[77:78]
	v_add_f64 v[40:41], v[36:37], -v[40:41]
	v_add_f64 v[42:43], v[38:39], -v[42:43]
	v_add_f64 v[48:49], v[62:63], -v[48:49]
	v_add_f64 v[50:51], v[54:55], -v[50:51]
	v_add_f64 v[52:53], v[32:33], -v[52:53]
	v_add_f64 v[56:57], v[58:59], -v[60:61]
	v_add_f64 v[16:17], v[26:27], -v[16:17]
	v_add_f64 v[20:21], v[34:35], -v[20:21]
	v_add_f64 v[46:47], v[0:1], -v[46:47]
	v_add_f64 v[12:13], v[6:7], -v[12:13]
	v_add_f64 v[14:15], v[24:25], -v[14:15]
	v_add_f64 v[22:23], v[18:19], -v[22:23]
	v_add_f64 v[2:3], v[4:5], -v[2:3]
	v_add_f64 v[60:61], v[8:9], -v[10:11]
	v_add_f64 v[66:67], v[28:29], -v[40:41]
	v_add_f64 v[68:69], v[48:49], -v[50:51]
	v_add_f64 v[70:71], v[52:53], -v[56:57]
	v_add_f64 v[74:75], v[42:43], v[16:17]
	v_add_f64 v[78:79], v[20:21], v[46:47]
	;; [unrolled: 1-line block ×4, first 2 shown]
	v_fma_f64 v[30:31], v[30:31], 2.0, -v[8:9]
	v_fma_f64 v[18:19], v[18:19], 2.0, -v[22:23]
	;; [unrolled: 1-line block ×16, first 2 shown]
	v_fma_f64 v[72:73], v[66:67], s[0:1], v[60:61]
	v_fma_f64 v[76:77], v[68:69], s[0:1], v[70:71]
	;; [unrolled: 1-line block ×4, first 2 shown]
	v_add_f64 v[46:47], v[30:31], -v[18:19]
	v_add_f64 v[10:11], v[22:23], -v[36:37]
	;; [unrolled: 1-line block ×8, first 2 shown]
	v_fma_f64 v[54:55], v[8:9], 2.0, -v[60:61]
	v_fma_f64 v[0:1], v[28:29], 2.0, -v[66:67]
	;; [unrolled: 1-line block ×8, first 2 shown]
	v_fma_f64 v[72:73], v[74:75], s[4:5], v[72:73]
	v_fma_f64 v[76:77], v[78:79], s[4:5], v[76:77]
	;; [unrolled: 1-line block ×4, first 2 shown]
	v_add_f64 v[52:53], v[46:47], -v[10:11]
	v_add_f64 v[56:57], v[36:37], -v[14:15]
	v_add_f64 v[58:59], v[18:19], v[34:35]
	v_add_f64 v[62:63], v[50:51], v[16:17]
	v_fma_f64 v[2:3], v[0:1], s[4:5], v[54:55]
	v_fma_f64 v[12:13], v[6:7], s[4:5], v[28:29]
	v_fma_f64 v[20:21], v[8:9], s[4:5], v[42:43]
	v_fma_f64 v[64:65], v[4:5], s[4:5], v[48:49]
	v_fma_f64 v[91:92], v[76:77], s[6:7], v[72:73]
	v_fma_f64 v[66:67], v[87:88], s[6:7], v[89:90]
	v_fma_f64 v[68:69], v[56:57], s[0:1], v[52:53]
	v_fma_f64 v[74:75], v[58:59], s[0:1], v[62:63]
	v_fma_f64 v[78:79], v[4:5], s[4:5], v[2:3]
	v_fma_f64 v[93:94], v[8:9], s[4:5], v[12:13]
	v_fma_f64 v[95:96], v[6:7], s[0:1], v[20:21]
	v_fma_f64 v[64:65], v[0:1], s[0:1], v[64:65]
	v_fma_f64 v[16:17], v[44:45], 2.0, -v[16:17]
	v_fma_f64 v[44:45], v[26:27], 2.0, -v[50:51]
	;; [unrolled: 1-line block ×5, first 2 shown]
	v_fma_f64 v[2:3], v[87:88], s[8:9], v[91:92]
	v_fma_f64 v[0:1], v[76:77], s[10:11], v[66:67]
	;; [unrolled: 1-line block ×6, first 2 shown]
	v_fma_f64 v[66:67], v[30:31], 2.0, -v[46:47]
	v_fma_f64 v[38:39], v[38:39], 2.0, -v[34:35]
	;; [unrolled: 1-line block ×3, first 2 shown]
	v_add_f64 v[74:75], v[44:45], -v[20:21]
	v_add_f64 v[91:92], v[32:33], -v[18:19]
	v_fma_f64 v[18:19], v[52:53], 2.0, -v[6:7]
	v_fma_f64 v[10:11], v[95:96], s[14:15], v[8:9]
	v_fma_f64 v[8:9], v[93:94], s[6:7], v[12:13]
	v_add_f64 v[40:41], v[66:67], -v[16:17]
	v_fma_f64 v[16:17], v[62:63], 2.0, -v[4:5]
	v_add_f64 v[68:69], v[38:39], -v[14:15]
	v_fma_f64 v[60:61], v[60:61], 2.0, -v[72:73]
	v_add_f64 v[24:25], v[74:75], v[91:92]
	v_fma_f64 v[70:71], v[70:71], 2.0, -v[76:77]
	v_fma_f64 v[52:53], v[46:47], 2.0, -v[52:53]
	;; [unrolled: 1-line block ×13, first 2 shown]
	v_add_f64 v[26:27], v[40:41], -v[68:69]
	v_fma_f64 v[28:29], v[74:75], 2.0, -v[24:25]
	v_fma_f64 v[34:35], v[70:71], s[8:9], v[60:61]
	v_fma_f64 v[54:55], v[36:37], s[4:5], v[52:53]
	;; [unrolled: 1-line block ×4, first 2 shown]
	v_fma_f64 v[66:67], v[66:67], 2.0, -v[40:41]
	v_fma_f64 v[85:86], v[32:33], 2.0, -v[91:92]
	;; [unrolled: 1-line block ×5, first 2 shown]
	v_fma_f64 v[78:79], v[50:51], s[14:15], v[58:59]
	v_fma_f64 v[48:49], v[72:73], s[8:9], v[76:77]
	v_fma_f64 v[30:31], v[40:41], 2.0, -v[26:27]
	v_fma_f64 v[34:35], v[72:73], s[14:15], v[34:35]
	v_fma_f64 v[38:39], v[46:47], s[4:5], v[54:55]
	;; [unrolled: 1-line block ×4, first 2 shown]
	v_add_f64 v[46:47], v[66:67], -v[85:86]
	v_add_f64 v[44:45], v[74:75], -v[44:45]
	v_fma_f64 v[42:43], v[42:43], s[8:9], v[78:79]
	v_fma_f64 v[32:33], v[70:71], s[6:7], v[48:49]
	v_fma_f64 v[50:51], v[60:61], 2.0, -v[34:35]
	v_fma_f64 v[54:55], v[52:53], 2.0, -v[38:39]
	;; [unrolled: 1-line block ×8, first 2 shown]
	v_mov_b32_e32 v83, 0
	v_mov_b32_e32 v64, s3
	v_add_co_u32_e32 v66, vcc, s2, v80
	v_fma_f64 v[12:13], v[89:90], 2.0, -v[0:1]
	v_addc_co_u32_e32 v67, vcc, v64, v81, vcc
	v_lshlrev_b64 v[64:65], 4, v[82:83]
	v_or_b32_e32 v82, 0x280, v82
	v_add_co_u32_e32 v64, vcc, v66, v64
	v_addc_co_u32_e32 v65, vcc, v67, v65, vcc
	global_store_dwordx4 v[64:65], v[60:63], off
	global_store_dwordx4 v[64:65], v[56:59], off offset:1280
	global_store_dwordx4 v[64:65], v[52:55], off offset:2560
	;; [unrolled: 1-line block ×3, first 2 shown]
	s_movk_i32 s0, 0x3000
	v_add_co_u32_e32 v48, vcc, s13, v64
	v_addc_co_u32_e32 v49, vcc, 0, v65, vcc
	global_store_dwordx4 v[48:49], v[28:31], off offset:1024
	global_store_dwordx4 v[48:49], v[20:23], off offset:2304
	;; [unrolled: 1-line block ×3, first 2 shown]
	s_nop 0
	v_add_co_u32_e32 v16, vcc, s12, v64
	v_addc_co_u32_e32 v17, vcc, 0, v65, vcc
	global_store_dwordx4 v[16:17], v[12:15], off offset:768
	s_nop 0
	v_lshlrev_b64 v[12:13], 4, v[82:83]
	v_add_co_u32_e32 v12, vcc, v66, v12
	v_addc_co_u32_e32 v13, vcc, v67, v13, vcc
	global_store_dwordx4 v[12:13], v[44:47], off
	global_store_dwordx4 v[16:17], v[40:43], off offset:3328
	v_add_co_u32_e32 v12, vcc, s0, v64
	v_addc_co_u32_e32 v13, vcc, 0, v65, vcc
	global_store_dwordx4 v[12:13], v[36:39], off offset:512
	global_store_dwordx4 v[12:13], v[32:35], off offset:1792
	;; [unrolled: 1-line block ×3, first 2 shown]
	v_add_co_u32_e32 v12, vcc, 0x4000, v64
	v_addc_co_u32_e32 v13, vcc, 0, v65, vcc
	global_store_dwordx4 v[12:13], v[8:11], off offset:256
	global_store_dwordx4 v[12:13], v[4:7], off offset:1536
	;; [unrolled: 1-line block ×3, first 2 shown]
.LBB0_21:
	s_endpgm
	.section	.rodata,"a",@progbits
	.p2align	6, 0x0
	.amdhsa_kernel fft_rtc_back_len1280_factors_16_5_16_wgs_80_tpt_80_halfLds_dp_ip_CI_unitstride_sbrr_dirReg
		.amdhsa_group_segment_fixed_size 0
		.amdhsa_private_segment_fixed_size 0
		.amdhsa_kernarg_size 88
		.amdhsa_user_sgpr_count 6
		.amdhsa_user_sgpr_private_segment_buffer 1
		.amdhsa_user_sgpr_dispatch_ptr 0
		.amdhsa_user_sgpr_queue_ptr 0
		.amdhsa_user_sgpr_kernarg_segment_ptr 1
		.amdhsa_user_sgpr_dispatch_id 0
		.amdhsa_user_sgpr_flat_scratch_init 0
		.amdhsa_user_sgpr_private_segment_size 0
		.amdhsa_uses_dynamic_stack 0
		.amdhsa_system_sgpr_private_segment_wavefront_offset 0
		.amdhsa_system_sgpr_workgroup_id_x 1
		.amdhsa_system_sgpr_workgroup_id_y 0
		.amdhsa_system_sgpr_workgroup_id_z 0
		.amdhsa_system_sgpr_workgroup_info 0
		.amdhsa_system_vgpr_workitem_id 0
		.amdhsa_next_free_vgpr 123
		.amdhsa_next_free_sgpr 22
		.amdhsa_reserve_vcc 1
		.amdhsa_reserve_flat_scratch 0
		.amdhsa_float_round_mode_32 0
		.amdhsa_float_round_mode_16_64 0
		.amdhsa_float_denorm_mode_32 3
		.amdhsa_float_denorm_mode_16_64 3
		.amdhsa_dx10_clamp 1
		.amdhsa_ieee_mode 1
		.amdhsa_fp16_overflow 0
		.amdhsa_exception_fp_ieee_invalid_op 0
		.amdhsa_exception_fp_denorm_src 0
		.amdhsa_exception_fp_ieee_div_zero 0
		.amdhsa_exception_fp_ieee_overflow 0
		.amdhsa_exception_fp_ieee_underflow 0
		.amdhsa_exception_fp_ieee_inexact 0
		.amdhsa_exception_int_div_zero 0
	.end_amdhsa_kernel
	.text
.Lfunc_end0:
	.size	fft_rtc_back_len1280_factors_16_5_16_wgs_80_tpt_80_halfLds_dp_ip_CI_unitstride_sbrr_dirReg, .Lfunc_end0-fft_rtc_back_len1280_factors_16_5_16_wgs_80_tpt_80_halfLds_dp_ip_CI_unitstride_sbrr_dirReg
                                        ; -- End function
	.section	.AMDGPU.csdata,"",@progbits
; Kernel info:
; codeLenInByte = 8604
; NumSgprs: 26
; NumVgprs: 123
; ScratchSize: 0
; MemoryBound: 1
; FloatMode: 240
; IeeeMode: 1
; LDSByteSize: 0 bytes/workgroup (compile time only)
; SGPRBlocks: 3
; VGPRBlocks: 30
; NumSGPRsForWavesPerEU: 26
; NumVGPRsForWavesPerEU: 123
; Occupancy: 2
; WaveLimiterHint : 1
; COMPUTE_PGM_RSRC2:SCRATCH_EN: 0
; COMPUTE_PGM_RSRC2:USER_SGPR: 6
; COMPUTE_PGM_RSRC2:TRAP_HANDLER: 0
; COMPUTE_PGM_RSRC2:TGID_X_EN: 1
; COMPUTE_PGM_RSRC2:TGID_Y_EN: 0
; COMPUTE_PGM_RSRC2:TGID_Z_EN: 0
; COMPUTE_PGM_RSRC2:TIDIG_COMP_CNT: 0
	.type	__hip_cuid_1693dd2a9275fd62,@object ; @__hip_cuid_1693dd2a9275fd62
	.section	.bss,"aw",@nobits
	.globl	__hip_cuid_1693dd2a9275fd62
__hip_cuid_1693dd2a9275fd62:
	.byte	0                               ; 0x0
	.size	__hip_cuid_1693dd2a9275fd62, 1

	.ident	"AMD clang version 19.0.0git (https://github.com/RadeonOpenCompute/llvm-project roc-6.4.0 25133 c7fe45cf4b819c5991fe208aaa96edf142730f1d)"
	.section	".note.GNU-stack","",@progbits
	.addrsig
	.addrsig_sym __hip_cuid_1693dd2a9275fd62
	.amdgpu_metadata
---
amdhsa.kernels:
  - .args:
      - .actual_access:  read_only
        .address_space:  global
        .offset:         0
        .size:           8
        .value_kind:     global_buffer
      - .offset:         8
        .size:           8
        .value_kind:     by_value
      - .actual_access:  read_only
        .address_space:  global
        .offset:         16
        .size:           8
        .value_kind:     global_buffer
      - .actual_access:  read_only
        .address_space:  global
        .offset:         24
        .size:           8
        .value_kind:     global_buffer
      - .offset:         32
        .size:           8
        .value_kind:     by_value
      - .actual_access:  read_only
        .address_space:  global
        .offset:         40
        .size:           8
        .value_kind:     global_buffer
      - .actual_access:  read_only
        .address_space:  global
        .offset:         48
        .size:           8
        .value_kind:     global_buffer
      - .offset:         56
        .size:           4
        .value_kind:     by_value
      - .actual_access:  read_only
        .address_space:  global
        .offset:         64
        .size:           8
        .value_kind:     global_buffer
      - .actual_access:  read_only
        .address_space:  global
        .offset:         72
        .size:           8
        .value_kind:     global_buffer
      - .address_space:  global
        .offset:         80
        .size:           8
        .value_kind:     global_buffer
    .group_segment_fixed_size: 0
    .kernarg_segment_align: 8
    .kernarg_segment_size: 88
    .language:       OpenCL C
    .language_version:
      - 2
      - 0
    .max_flat_workgroup_size: 80
    .name:           fft_rtc_back_len1280_factors_16_5_16_wgs_80_tpt_80_halfLds_dp_ip_CI_unitstride_sbrr_dirReg
    .private_segment_fixed_size: 0
    .sgpr_count:     26
    .sgpr_spill_count: 0
    .symbol:         fft_rtc_back_len1280_factors_16_5_16_wgs_80_tpt_80_halfLds_dp_ip_CI_unitstride_sbrr_dirReg.kd
    .uniform_work_group_size: 1
    .uses_dynamic_stack: false
    .vgpr_count:     123
    .vgpr_spill_count: 0
    .wavefront_size: 64
amdhsa.target:   amdgcn-amd-amdhsa--gfx906
amdhsa.version:
  - 1
  - 2
...

	.end_amdgpu_metadata
